;; amdgpu-corpus repo=ROCm/rocFFT kind=compiled arch=gfx950 opt=O3
	.text
	.amdgcn_target "amdgcn-amd-amdhsa--gfx950"
	.amdhsa_code_object_version 6
	.protected	fft_rtc_fwd_len200_factors_8_5_5_wgs_400_tpt_40_dp_op_CI_CI_sbrc_erc_z_xy_unaligned_dirReg ; -- Begin function fft_rtc_fwd_len200_factors_8_5_5_wgs_400_tpt_40_dp_op_CI_CI_sbrc_erc_z_xy_unaligned_dirReg
	.globl	fft_rtc_fwd_len200_factors_8_5_5_wgs_400_tpt_40_dp_op_CI_CI_sbrc_erc_z_xy_unaligned_dirReg
	.p2align	8
	.type	fft_rtc_fwd_len200_factors_8_5_5_wgs_400_tpt_40_dp_op_CI_CI_sbrc_erc_z_xy_unaligned_dirReg,@function
fft_rtc_fwd_len200_factors_8_5_5_wgs_400_tpt_40_dp_op_CI_CI_sbrc_erc_z_xy_unaligned_dirReg: ; @fft_rtc_fwd_len200_factors_8_5_5_wgs_400_tpt_40_dp_op_CI_CI_sbrc_erc_z_xy_unaligned_dirReg
; %bb.0:
	s_load_dwordx8 s[4:11], s[0:1], 0x8
	s_mov_b64 s[26:27], -1
	s_waitcnt lgkmcnt(0)
	s_load_dwordx4 s[12:15], s[6:7], 0x8
	s_load_dwordx4 s[16:19], s[8:9], 0x0
	s_waitcnt lgkmcnt(0)
	s_load_dword s13, s[8:9], 0x10
	s_add_i32 s3, s12, -1
	s_mul_hi_u32 s3, s3, 0xcccccccd
	s_lshr_b32 s3, s3, 3
	s_add_i32 s6, s3, 1
	s_mul_i32 s7, s6, s14
	v_cvt_f32_u32_e32 v2, s7
	v_cvt_f32_u32_e32 v1, s6
	s_sub_i32 s14, 0, s7
	v_rcp_iflag_f32_e32 v2, v2
	v_rcp_iflag_f32_e32 v1, v1
	v_mul_f32_e32 v2, 0x4f7ffffe, v2
	v_cvt_u32_f32_e32 v2, v2
	v_mul_f32_e32 v1, 0x4f7ffffe, v1
	v_cvt_u32_f32_e32 v1, v1
	v_readfirstlane_b32 s19, v2
	s_mul_i32 s14, s14, s19
	s_mul_hi_u32 s14, s19, s14
	s_add_i32 s19, s19, s14
	s_mul_hi_u32 s14, s2, s19
	s_mul_i32 s19, s14, s7
	s_sub_i32 s19, s2, s19
	s_add_i32 s20, s14, 1
	s_sub_i32 s21, s19, s7
	s_cmp_ge_u32 s19, s7
	s_cselect_b32 s14, s20, s14
	s_cselect_b32 s19, s21, s19
	s_add_i32 s20, s14, 1
	s_cmp_ge_u32 s19, s7
	v_readfirstlane_b32 s15, v1
	s_cselect_b32 s28, s20, s14
	s_not_b32 s3, s3
	s_mul_i32 s3, s3, s15
	s_mul_i32 s7, s28, s7
	s_mul_hi_u32 s3, s15, s3
	s_sub_i32 s7, s2, s7
	s_add_i32 s15, s15, s3
	s_mul_hi_u32 s3, s7, s15
	s_mul_i32 s14, s3, s6
	s_sub_i32 s7, s7, s14
	s_add_i32 s19, s3, 1
	s_sub_i32 s14, s7, s6
	s_cmp_ge_u32 s7, s6
	s_cselect_b32 s3, s19, s3
	s_cselect_b32 s7, s14, s7
	s_add_i32 s14, s3, 1
	s_cmp_ge_u32 s7, s6
	s_cselect_b32 s29, s14, s3
	s_mul_hi_u32 s3, s2, s15
	s_mul_i32 s3, s3, s6
	s_sub_i32 s2, s2, s3
	s_sub_i32 s3, s2, s6
	s_cmp_ge_u32 s2, s6
	s_cselect_b32 s2, s3, s2
	s_sub_i32 s3, s2, s6
	s_cmp_ge_u32 s2, s6
	s_cselect_b32 s2, s3, s2
	s_waitcnt lgkmcnt(0)
	s_mul_i32 s3, s29, s13
	s_mul_i32 s13, s2, 10
	;; [unrolled: 1-line block ×3, first 2 shown]
	s_add_i32 s19, s2, s3
	s_lshl_b64 s[14:15], s[4:5], 3
	s_add_u32 s8, s8, s14
	s_addc_u32 s9, s9, s15
	s_load_dwordx2 s[22:23], s[8:9], 0x0
	s_load_dwordx2 s[20:21], s[0:1], 0x58
	s_load_dwordx4 s[4:7], s[10:11], 0x0
	s_load_dwordx2 s[2:3], s[10:11], 0x10
	v_mul_u32_u24_e32 v1, 0x148, v0
	s_waitcnt lgkmcnt(0)
	s_mul_i32 s3, s23, s28
	s_mul_hi_u32 s7, s22, s28
	s_add_i32 s7, s7, s3
	s_mul_i32 s3, s22, s28
	s_add_u32 s22, s3, s19
	s_addc_u32 s23, s7, 0
	s_add_u32 s24, s10, s14
	s_addc_u32 s25, s11, s15
	s_add_i32 s3, s13, 10
	s_cmp_le_u32 s3, s12
	v_lshrrev_b32_e32 v1, 16, v1
	s_cselect_b64 s[8:9], -1, 0
	v_mul_lo_u16_e32 v2, 0xc8, v1
	v_sub_u16_e32 v4, v0, v2
	s_and_b64 vcc, exec, s[8:9]
	s_cbranch_vccz .LBB0_2
; %bb.1:
	v_mad_u64_u32 v[2:3], s[10:11], s16, v4, 0
	v_mov_b32_e32 v6, v3
	v_mad_u64_u32 v[6:7], s[10:11], s17, v4, v[6:7]
	s_lshl_b64 s[10:11], s[22:23], 4
	s_add_u32 s10, s20, s10
	v_mov_b32_e32 v3, v6
	s_addc_u32 s11, s21, s11
	v_mul_lo_u32 v22, s18, v1
	v_mov_b32_e32 v23, 0
	v_lshl_add_u64 v[2:3], v[2:3], 4, s[10:11]
	s_lshl_b32 s3, s18, 1
	v_lshl_add_u64 v[14:15], v[22:23], 4, v[2:3]
	v_add_u32_e32 v22, s3, v22
	v_lshl_add_u64 v[16:17], v[22:23], 4, v[2:3]
	v_add_u32_e32 v22, s3, v22
	;; [unrolled: 2-line block ×3, first 2 shown]
	global_load_dwordx4 v[6:9], v[14:15], off
	global_load_dwordx4 v[10:13], v[16:17], off
	v_lshl_add_u64 v[26:27], v[22:23], 4, v[2:3]
	global_load_dwordx4 v[14:17], v[24:25], off
	global_load_dwordx4 v[18:21], v[26:27], off
	v_add_u32_e32 v22, s3, v22
	v_lshl_add_u64 v[2:3], v[22:23], 4, v[2:3]
	global_load_dwordx4 v[22:25], v[2:3], off
	v_mul_u32_u24_e32 v2, 0xc90, v1
	v_lshlrev_b32_e32 v3, 4, v4
	v_add3_u32 v2, 0, v2, v3
	v_add_u32_e32 v3, 0x6000, v2
	s_mov_b64 s[26:27], 0
	s_waitcnt vmcnt(4)
	ds_write_b128 v2, v[6:9]
	s_waitcnt vmcnt(3)
	ds_write_b128 v2, v[10:13] offset:6432
	s_waitcnt vmcnt(2)
	ds_write_b128 v2, v[14:17] offset:12864
	;; [unrolled: 2-line block ×3, first 2 shown]
	s_waitcnt vmcnt(0)
	ds_write2_b64 v3, v[22:23], v[24:25] offset0:144 offset1:145
.LBB0_2:
	s_load_dwordx2 s[14:15], s[0:1], 0x0
	s_load_dwordx2 s[10:11], s[24:25], 0x0
	s_andn2_b64 vcc, exec, s[26:27]
	s_cbranch_vccnz .LBB0_7
; %bb.3:
	v_add_u32_e32 v6, s13, v1
	v_cmp_gt_u32_e32 vcc, s12, v6
	s_and_saveexec_b64 s[24:25], vcc
	s_cbranch_execz .LBB0_6
; %bb.4:
	v_mad_u64_u32 v[2:3], s[26:27], s16, v4, 0
	v_mov_b32_e32 v8, v3
	v_mad_u64_u32 v[8:9], s[16:17], s17, v4, v[8:9]
	s_lshl_b64 s[16:17], s[22:23], 4
	s_add_u32 s16, s20, s16
	v_mov_b32_e32 v3, v8
	s_addc_u32 s17, s21, s17
	v_mul_u32_u24_e32 v5, 0xc90, v1
	v_lshlrev_b32_e32 v4, 4, v4
	v_lshl_add_u64 v[2:3], v[2:3], 4, s[16:17]
	v_add3_u32 v7, v5, v4, 0
	v_mul_lo_u32 v4, v1, s18
	s_lshl_b32 s3, s18, 1
	s_mov_b64 s[16:17], 0
	v_mov_b32_e32 v5, 0
.LBB0_5:                                ; =>This Inner Loop Header: Depth=1
	v_lshl_add_u64 v[8:9], v[4:5], 4, v[2:3]
	global_load_dwordx4 v[8:11], v[8:9], off
	v_add_u32_e32 v6, 2, v6
	v_cmp_le_u32_e32 vcc, s12, v6
	v_add_u32_e32 v4, s3, v4
	s_or_b64 s[16:17], vcc, s[16:17]
	s_waitcnt vmcnt(0)
	ds_write_b128 v7, v[8:11]
	v_add_u32_e32 v7, 0x1920, v7
	s_andn2_b64 exec, exec, s[16:17]
	s_cbranch_execnz .LBB0_5
.LBB0_6:
	s_or_b64 exec, exec, s[24:25]
.LBB0_7:
	s_movk_i32 s3, 0x667
	v_mul_u32_u24_sdwa v1, v0, s3 dst_sel:DWORD dst_unused:UNUSED_PAD src0_sel:WORD_0 src1_sel:DWORD
	v_add_u32_sdwa v1, s13, v1 dst_sel:DWORD dst_unused:UNUSED_PAD src0_sel:DWORD src1_sel:WORD_1
	s_mov_b32 s3, 0xcccccccd
	v_mul_hi_u32 v2, v1, s3
	v_lshrrev_b32_e32 v2, 3, v2
	v_mul_lo_u32 v2, v2, 10
	s_mov_b32 s3, 0x6666667
	v_sub_u32_e32 v1, v1, v2
	v_mul_hi_u32 v2, v0, s3
	v_mul_u32_u24_e32 v2, 40, v2
	v_mul_u32_u24_e32 v1, 0xc9, v1
	v_sub_u32_e32 v35, v0, v2
	v_lshlrev_b32_e32 v36, 4, v1
	v_lshlrev_b32_e32 v1, 4, v35
	v_add3_u32 v34, 0, v36, v1
	v_add_u32_e32 v37, 0, v1
	s_waitcnt lgkmcnt(0)
	s_barrier
	v_add_u32_e32 v1, v37, v36
	ds_read_b128 v[10:13], v34
	ds_read_b128 v[2:5], v1 offset:400
	ds_read_b128 v[14:17], v1 offset:800
	;; [unrolled: 1-line block ×7, first 2 shown]
	s_load_dwordx2 s[0:1], s[0:1], 0x60
	v_cmp_gt_u32_e32 vcc, 25, v35
	s_waitcnt lgkmcnt(0)
	s_barrier
	s_and_saveexec_b64 s[16:17], vcc
	s_cbranch_execz .LBB0_9
; %bb.8:
	v_add_f64 v[38:39], v[12:13], -v[20:21]
	v_add_f64 v[22:23], v[14:15], -v[22:23]
	v_add_f64 v[28:29], v[4:5], -v[28:29]
	v_add_f64 v[30:31], v[6:7], -v[30:31]
	v_add_f64 v[40:41], v[38:39], v[22:23]
	v_add_f64 v[42:43], v[28:29], v[30:31]
	s_mov_b32 s18, 0x667f3bcd
	v_add_f64 v[44:45], v[2:3], -v[26:27]
	v_add_f64 v[32:33], v[8:9], -v[32:33]
	;; [unrolled: 1-line block ×3, first 2 shown]
	s_mov_b32 s19, 0x3fe6a09e
	v_add_f64 v[46:47], v[44:45], -v[32:33]
	v_add_f64 v[50:51], v[16:17], -v[24:25]
	s_mov_b32 s21, 0xbfe6a09e
	s_mov_b32 s20, s18
	v_fma_f64 v[58:59], v[10:11], 2.0, -v[48:49]
	v_fma_f64 v[10:11], v[14:15], 2.0, -v[22:23]
	;; [unrolled: 1-line block ×5, first 2 shown]
	v_add_f64 v[52:53], v[48:49], -v[50:51]
	v_fma_f64 v[54:55], v[12:13], 2.0, -v[38:39]
	v_fma_f64 v[12:13], v[16:17], 2.0, -v[50:51]
	v_fma_f64 v[4:5], v[8:9], 2.0, -v[32:33]
	v_fma_f64 v[16:17], s[20:21], v[28:29], v[14:15]
	v_fma_f64 v[32:33], v[44:45], 2.0, -v[46:47]
	v_fma_f64 v[20:21], s[18:19], v[42:43], v[40:41]
	v_add_f64 v[50:51], v[54:55], -v[12:13]
	v_fma_f64 v[2:3], v[2:3], 2.0, -v[44:45]
	v_fma_f64 v[6:7], v[6:7], 2.0, -v[30:31]
	v_add_f64 v[22:23], v[58:59], -v[10:11]
	v_add_f64 v[8:9], v[60:61], -v[4:5]
	v_fmac_f64_e32 v[16:17], s[18:19], v[32:33]
	v_fma_f64 v[38:39], v[48:49], 2.0, -v[52:53]
	v_fmac_f64_e32 v[20:21], s[18:19], v[46:47]
	v_add_f64 v[56:57], v[2:3], -v[6:7]
	v_add_f64 v[4:5], v[22:23], -v[8:9]
	v_fma_f64 v[30:31], v[14:15], 2.0, -v[16:17]
	v_fma_f64 v[14:15], s[20:21], v[32:33], v[38:39]
	v_fma_f64 v[32:33], v[54:55], 2.0, -v[50:51]
	v_fma_f64 v[8:9], v[60:61], 2.0, -v[8:9]
	;; [unrolled: 1-line block ×3, first 2 shown]
	v_fmac_f64_e32 v[14:15], s[20:21], v[28:29]
	v_add_f64 v[40:41], v[32:33], -v[8:9]
	v_fma_f64 v[8:9], v[58:59], 2.0, -v[22:23]
	v_fma_f64 v[2:3], v[2:3], 2.0, -v[56:57]
	v_fma_f64 v[18:19], s[18:19], v[46:47], v[52:53]
	v_fma_f64 v[28:29], v[38:39], 2.0, -v[14:15]
	v_add_f64 v[38:39], v[8:9], -v[2:3]
	v_mul_u32_u24_e32 v2, 0x70, v35
	v_fmac_f64_e32 v[18:19], s[20:21], v[42:43]
	v_add_f64 v[6:7], v[50:51], v[56:57]
	v_fma_f64 v[44:45], v[32:33], 2.0, -v[40:41]
	v_fma_f64 v[42:43], v[8:9], 2.0, -v[38:39]
	v_add3_u32 v2, v37, v2, v36
	v_fma_f64 v[24:25], v[52:53], 2.0, -v[18:19]
	v_fma_f64 v[12:13], v[50:51], 2.0, -v[6:7]
	;; [unrolled: 1-line block ×3, first 2 shown]
	ds_write_b128 v2, v[42:45]
	ds_write_b128 v2, v[28:31] offset:16
	ds_write_b128 v2, v[10:13] offset:32
	;; [unrolled: 1-line block ×7, first 2 shown]
.LBB0_9:
	s_or_b64 exec, exec, s[16:17]
	v_and_b32_e32 v37, 7, v35
	v_lshlrev_b32_e32 v18, 6, v37
	s_waitcnt lgkmcnt(0)
	s_barrier
	global_load_dwordx4 v[2:5], v18, s[14:15]
	global_load_dwordx4 v[6:9], v18, s[14:15] offset:16
	global_load_dwordx4 v[10:13], v18, s[14:15] offset:32
	;; [unrolled: 1-line block ×3, first 2 shown]
	ds_read_b128 v[18:21], v34
	ds_read_b128 v[22:25], v1 offset:640
	ds_read_b128 v[26:29], v1 offset:1280
	;; [unrolled: 1-line block ×4, first 2 shown]
	s_mov_b32 s18, 0x134454ff
	s_mov_b32 s19, 0x3fee6f0e
	;; [unrolled: 1-line block ×10, first 2 shown]
	s_waitcnt lgkmcnt(0)
	s_barrier
	s_mul_i32 s29, s29, s6
	s_mul_i32 s3, s5, s13
	s_mul_hi_u32 s6, s4, s13
	s_mul_i32 s7, s4, s13
	s_add_i32 s6, s6, s3
	s_mul_i32 s11, s11, s28
	s_add_u32 s3, s7, s29
	s_addc_u32 s7, s6, 0
	s_waitcnt vmcnt(3)
	v_mul_f64 v[42:43], v[24:25], v[4:5]
	v_mul_f64 v[44:45], v[22:23], v[4:5]
	s_waitcnt vmcnt(2)
	v_mul_f64 v[4:5], v[28:29], v[8:9]
	v_mul_f64 v[46:47], v[26:27], v[8:9]
	;; [unrolled: 3-line block ×4, first 2 shown]
	v_fma_f64 v[16:17], v[22:23], v[2:3], -v[42:43]
	v_fmac_f64_e32 v[44:45], v[24:25], v[2:3]
	v_fma_f64 v[2:3], v[26:27], v[6:7], -v[4:5]
	v_fmac_f64_e32 v[46:47], v[28:29], v[6:7]
	v_fma_f64 v[6:7], v[30:31], v[10:11], -v[8:9]
	v_fma_f64 v[22:23], v[38:39], v[14:15], -v[12:13]
	v_fmac_f64_e32 v[48:49], v[32:33], v[10:11]
	v_fmac_f64_e32 v[50:51], v[40:41], v[14:15]
	v_add_f64 v[4:5], v[18:19], v[16:17]
	v_add_f64 v[8:9], v[2:3], v[6:7]
	;; [unrolled: 1-line block ×3, first 2 shown]
	v_add_f64 v[26:27], v[46:47], -v[48:49]
	v_add_f64 v[10:11], v[16:17], -v[2:3]
	;; [unrolled: 1-line block ×4, first 2 shown]
	v_add_f64 v[38:39], v[46:47], v[48:49]
	v_add_f64 v[42:43], v[2:3], -v[6:7]
	v_add_f64 v[54:55], v[44:45], v[50:51]
	v_add_f64 v[56:57], v[4:5], v[2:3]
	v_fma_f64 v[2:3], -0.5, v[8:9], v[18:19]
	v_fmac_f64_e32 v[18:19], -0.5, v[14:15]
	v_add_f64 v[24:25], v[44:45], -v[50:51]
	v_add_f64 v[32:33], v[20:21], v[44:45]
	v_add_f64 v[58:59], v[10:11], v[12:13]
	v_fma_f64 v[4:5], -0.5, v[38:39], v[20:21]
	v_fmac_f64_e32 v[20:21], -0.5, v[54:55]
	v_add_f64 v[14:15], v[56:57], v[6:7]
	v_fma_f64 v[10:11], s[22:23], v[26:27], v[18:19]
	v_fmac_f64_e32 v[18:19], s[18:19], v[26:27]
	v_add_f64 v[30:31], v[6:7], -v[22:23]
	v_add_f64 v[40:41], v[16:17], -v[22:23]
	v_fma_f64 v[6:7], s[18:19], v[24:25], v[2:3]
	v_fmac_f64_e32 v[2:3], s[22:23], v[24:25]
	v_fma_f64 v[12:13], s[18:19], v[42:43], v[20:21]
	v_add_f64 v[14:15], v[14:15], v[22:23]
	v_fmac_f64_e32 v[10:11], s[16:17], v[24:25]
	v_fmac_f64_e32 v[18:19], s[24:25], v[24:25]
	v_add_f64 v[22:23], v[46:47], -v[44:45]
	v_add_f64 v[24:25], v[48:49], -v[50:51]
	v_fmac_f64_e32 v[20:21], s[22:23], v[42:43]
	v_fmac_f64_e32 v[12:13], s[24:25], v[40:41]
	v_add_f64 v[22:23], v[22:23], v[24:25]
	v_fmac_f64_e32 v[20:21], s[16:17], v[40:41]
	v_fmac_f64_e32 v[12:13], s[20:21], v[22:23]
	;; [unrolled: 1-line block ×3, first 2 shown]
	v_lshrrev_b32_e32 v22, 3, v35
	v_mul_u32_u24_e32 v22, 40, v22
	v_add_f64 v[16:17], v[44:45], -v[46:47]
	v_add_f64 v[52:53], v[50:51], -v[48:49]
	v_add_f64 v[8:9], v[32:33], v[46:47]
	v_or_b32_e32 v22, v22, v37
	v_add_f64 v[28:29], v[28:29], v[30:31]
	v_add_f64 v[30:31], v[16:17], v[52:53]
	;; [unrolled: 1-line block ×3, first 2 shown]
	v_fma_f64 v[8:9], s[22:23], v[40:41], v[4:5]
	v_fmac_f64_e32 v[4:5], s[18:19], v[40:41]
	v_fmac_f64_e32 v[2:3], s[24:25], v[26:27]
	v_lshlrev_b32_e32 v22, 4, v22
	v_fmac_f64_e32 v[6:7], s[16:17], v[26:27]
	v_add_f64 v[16:17], v[16:17], v[50:51]
	v_fmac_f64_e32 v[8:9], s[24:25], v[42:43]
	v_fmac_f64_e32 v[4:5], s[16:17], v[42:43]
	;; [unrolled: 1-line block ×3, first 2 shown]
	v_add3_u32 v22, 0, v22, v36
	v_fmac_f64_e32 v[6:7], s[20:21], v[58:59]
	v_fmac_f64_e32 v[10:11], s[20:21], v[28:29]
	;; [unrolled: 1-line block ×5, first 2 shown]
	ds_write_b128 v22, v[14:17]
	ds_write_b128 v22, v[6:9] offset:128
	ds_write_b128 v22, v[10:13] offset:256
	;; [unrolled: 1-line block ×4, first 2 shown]
	v_lshlrev_b32_e32 v2, 2, v35
	v_mov_b32_e32 v3, 0
	v_lshl_add_u64 v[20:21], v[2:3], 4, s[14:15]
	s_waitcnt lgkmcnt(0)
	s_barrier
	global_load_dwordx4 v[4:7], v[20:21], off offset:512
	global_load_dwordx4 v[8:11], v[20:21], off offset:528
	;; [unrolled: 1-line block ×4, first 2 shown]
	ds_read_b128 v[20:23], v34
	ds_read_b128 v[24:27], v1 offset:640
	ds_read_b128 v[28:31], v1 offset:1280
	;; [unrolled: 1-line block ×4, first 2 shown]
	s_mul_hi_u32 s14, s10, s28
	s_mul_i32 s10, s10, s28
	s_add_i32 s14, s14, s11
	s_add_u32 s6, s3, s10
	s_mov_b32 s3, 0x1999999a
	s_waitcnt lgkmcnt(0)
	s_barrier
	s_addc_u32 s7, s7, s14
	s_andn2_b64 vcc, exec, s[8:9]
	s_waitcnt vmcnt(3)
	v_mul_f64 v[40:41], v[26:27], v[6:7]
	v_mul_f64 v[42:43], v[24:25], v[6:7]
	s_waitcnt vmcnt(2)
	v_mul_f64 v[6:7], v[30:31], v[10:11]
	v_mul_f64 v[44:45], v[28:29], v[10:11]
	;; [unrolled: 3-line block ×4, first 2 shown]
	v_fma_f64 v[24:25], v[24:25], v[4:5], -v[40:41]
	v_fmac_f64_e32 v[42:43], v[26:27], v[4:5]
	v_fma_f64 v[26:27], v[28:29], v[8:9], -v[6:7]
	v_fma_f64 v[28:29], v[32:33], v[12:13], -v[10:11]
	;; [unrolled: 1-line block ×3, first 2 shown]
	v_fmac_f64_e32 v[48:49], v[38:39], v[16:17]
	v_add_f64 v[4:5], v[20:21], v[24:25]
	v_add_f64 v[6:7], v[26:27], v[28:29]
	v_fmac_f64_e32 v[44:45], v[30:31], v[8:9]
	v_fmac_f64_e32 v[46:47], v[34:35], v[12:13]
	v_add_f64 v[14:15], v[42:43], -v[48:49]
	v_add_f64 v[8:9], v[24:25], -v[26:27]
	;; [unrolled: 1-line block ×3, first 2 shown]
	v_add_f64 v[16:17], v[24:25], v[10:11]
	v_add_f64 v[34:35], v[4:5], v[26:27]
	v_fma_f64 v[4:5], -0.5, v[6:7], v[20:21]
	v_add_f64 v[18:19], v[44:45], -v[46:47]
	v_add_f64 v[6:7], v[8:9], v[12:13]
	v_fmac_f64_e32 v[20:21], -0.5, v[16:17]
	v_fma_f64 v[8:9], s[18:19], v[14:15], v[4:5]
	v_fmac_f64_e32 v[4:5], s[22:23], v[14:15]
	v_add_f64 v[30:31], v[26:27], -v[24:25]
	v_add_f64 v[32:33], v[28:29], -v[10:11]
	v_fma_f64 v[12:13], s[22:23], v[18:19], v[20:21]
	v_fmac_f64_e32 v[8:9], s[16:17], v[18:19]
	v_fmac_f64_e32 v[4:5], s[24:25], v[18:19]
	;; [unrolled: 1-line block ×6, first 2 shown]
	v_add_f64 v[6:7], v[30:31], v[32:33]
	v_fmac_f64_e32 v[20:21], s[24:25], v[14:15]
	v_fmac_f64_e32 v[12:13], s[20:21], v[6:7]
	;; [unrolled: 1-line block ×3, first 2 shown]
	v_add_f64 v[6:7], v[22:23], v[42:43]
	v_add_f64 v[6:7], v[6:7], v[44:45]
	;; [unrolled: 1-line block ×6, first 2 shown]
	v_fma_f64 v[6:7], -0.5, v[6:7], v[22:23]
	v_add_f64 v[24:25], v[24:25], -v[10:11]
	v_add_f64 v[16:17], v[16:17], v[10:11]
	v_fma_f64 v[10:11], s[22:23], v[24:25], v[6:7]
	v_add_f64 v[26:27], v[26:27], -v[28:29]
	v_add_f64 v[14:15], v[42:43], -v[44:45]
	;; [unrolled: 1-line block ×3, first 2 shown]
	v_fmac_f64_e32 v[6:7], s[18:19], v[24:25]
	v_fmac_f64_e32 v[10:11], s[24:25], v[26:27]
	v_add_f64 v[14:15], v[14:15], v[28:29]
	v_fmac_f64_e32 v[6:7], s[16:17], v[26:27]
	v_fmac_f64_e32 v[10:11], s[20:21], v[14:15]
	;; [unrolled: 1-line block ×3, first 2 shown]
	v_add_f64 v[14:15], v[42:43], v[48:49]
	v_fmac_f64_e32 v[22:23], -0.5, v[14:15]
	v_fma_f64 v[14:15], s[18:19], v[26:27], v[22:23]
	v_add_f64 v[28:29], v[44:45], -v[42:43]
	v_add_f64 v[30:31], v[46:47], -v[48:49]
	v_fmac_f64_e32 v[22:23], s[22:23], v[26:27]
	v_fmac_f64_e32 v[14:15], s[24:25], v[24:25]
	v_add_f64 v[28:29], v[28:29], v[30:31]
	v_fmac_f64_e32 v[22:23], s[16:17], v[24:25]
	v_fmac_f64_e32 v[14:15], s[20:21], v[28:29]
	;; [unrolled: 1-line block ×3, first 2 shown]
	ds_write_b128 v1, v[16:19]
	ds_write_b128 v1, v[8:11] offset:640
	ds_write_b128 v1, v[12:15] offset:1280
	;; [unrolled: 1-line block ×4, first 2 shown]
	v_mul_hi_u32 v1, v0, s3
	v_mul_u32_u24_e32 v2, 10, v1
	v_sub_u32_e32 v10, v0, v2
	s_waitcnt lgkmcnt(0)
	s_barrier
	s_cbranch_vccnz .LBB0_13
; %bb.10:
	v_mad_u64_u32 v[8:9], s[8:9], s4, v10, 0
	v_mov_b32_e32 v2, v9
	v_mad_u64_u32 v[4:5], s[8:9], s5, v10, v[2:3]
	v_mov_b32_e32 v9, v4
	v_mul_i32_i24_e32 v4, 0xc90, v10
	v_lshlrev_b32_e32 v5, 4, v1
	v_add3_u32 v11, 0, v4, v5
	s_lshl_b64 s[8:9], s[6:7], 4
	ds_read_b128 v[4:7], v11
	ds_read_b128 v[12:15], v11 offset:640
	s_add_u32 s8, s0, s8
	s_addc_u32 s9, s1, s9
	v_mul_lo_u32 v2, v1, s2
	v_lshl_add_u64 v[8:9], v[8:9], 4, s[8:9]
	v_lshl_add_u64 v[16:17], v[2:3], 4, v[8:9]
	s_waitcnt lgkmcnt(1)
	global_store_dwordx4 v[16:17], v[4:7], off
	ds_read_b128 v[4:7], v11 offset:1280
	s_mul_i32 s3, s2, 40
	v_add_u32_e32 v2, s3, v2
	v_lshl_add_u64 v[16:17], v[2:3], 4, v[8:9]
	v_add_u32_e32 v2, s3, v2
	s_waitcnt lgkmcnt(1)
	global_store_dwordx4 v[16:17], v[12:15], off
	ds_read_b128 v[12:15], v11 offset:1920
	v_lshl_add_u64 v[16:17], v[2:3], 4, v[8:9]
	s_waitcnt lgkmcnt(1)
	global_store_dwordx4 v[16:17], v[4:7], off
	ds_read_b128 v[4:7], v11 offset:2560
	v_add_u32_e32 v2, s3, v2
	v_lshl_add_u64 v[16:17], v[2:3], 4, v[8:9]
	v_add_u32_e32 v2, s3, v2
	v_lshl_add_u64 v[2:3], v[2:3], 4, v[8:9]
	v_cmp_gt_u32_e32 vcc, 10, v0
	s_mov_b64 s[10:11], 0
	s_mov_b64 s[8:9], 0
	s_waitcnt lgkmcnt(1)
	global_store_dwordx4 v[16:17], v[12:15], off
	s_waitcnt lgkmcnt(0)
	global_store_dwordx4 v[2:3], v[4:7], off
                                        ; implicit-def: $vgpr4_vgpr5
                                        ; implicit-def: $vgpr6_vgpr7
	s_and_saveexec_b64 s[14:15], vcc
	s_cbranch_execz .LBB0_12
; %bb.11:
	ds_read_b128 v[2:5], v11 offset:3200
	v_or_b32_e32 v6, 0xc8, v1
	v_mul_lo_u32 v6, v6, s2
	v_mov_b32_e32 v7, 0
	s_mov_b64 s[8:9], exec
	v_lshl_add_u64 v[6:7], v[6:7], 4, v[8:9]
	s_waitcnt lgkmcnt(0)
	global_store_dwordx2 v[6:7], v[2:3], off
.LBB0_12:
	s_or_b64 exec, exec, s[14:15]
	s_and_b64 vcc, exec, s[10:11]
	s_cbranch_vccnz .LBB0_14
	s_branch .LBB0_19
.LBB0_13:
	s_mov_b64 s[8:9], 0
                                        ; implicit-def: $vgpr4_vgpr5
                                        ; implicit-def: $vgpr6_vgpr7
	s_cbranch_execz .LBB0_19
.LBB0_14:
	v_add_u32_e32 v2, s13, v10
	v_cmp_gt_u32_e32 vcc, s12, v2
                                        ; implicit-def: $vgpr4_vgpr5
                                        ; implicit-def: $vgpr6_vgpr7
	s_and_saveexec_b64 s[10:11], vcc
	s_cbranch_execz .LBB0_18
; %bb.15:
	v_mad_u64_u32 v[12:13], s[14:15], s4, v10, 0
	v_mov_b32_e32 v2, v13
	v_mad_u64_u32 v[2:3], s[4:5], s5, v10, v[2:3]
	s_movk_i32 s3, 0xc90
	v_mov_b32_e32 v13, v2
	v_mad_i32_i24 v2, v10, s3, 0
	v_mul_lo_u32 v8, v1, s2
	v_lshl_add_u32 v1, v1, 4, v2
	s_lshl_b64 s[4:5], s[6:7], 4
	ds_read_b128 v[4:7], v1
	s_add_u32 s0, s0, s4
	s_addc_u32 s1, s1, s5
	v_mov_b32_e32 v9, 0
	v_lshl_add_u64 v[10:11], v[12:13], 4, s[0:1]
	ds_read_b128 v[12:15], v1 offset:640
	v_lshl_add_u64 v[16:17], v[8:9], 4, v[10:11]
	s_waitcnt lgkmcnt(1)
	global_store_dwordx4 v[16:17], v[4:7], off
	ds_read_b128 v[4:7], v1 offset:1280
	s_mul_i32 s4, s2, 40
	v_add_u32_e32 v8, s4, v8
	v_lshl_add_u64 v[16:17], v[8:9], 4, v[10:11]
	v_add_u32_e32 v8, s4, v8
	s_waitcnt lgkmcnt(1)
	global_store_dwordx4 v[16:17], v[12:15], off
	ds_read_b128 v[12:15], v1 offset:1920
	v_lshl_add_u64 v[16:17], v[8:9], 4, v[10:11]
	s_waitcnt lgkmcnt(1)
	global_store_dwordx4 v[16:17], v[4:7], off
	ds_read_b128 v[4:7], v1 offset:2560
	s_mul_hi_u32 s0, s12, 0xcccccccd
	s_lshr_b32 s0, s0, 3
	v_add_u32_e32 v8, s4, v8
	s_mul_i32 s0, s0, 10
	v_lshl_add_u64 v[16:17], v[8:9], 4, v[10:11]
	v_add_u32_e32 v8, s4, v8
	s_sub_i32 s0, s12, s0
	s_waitcnt lgkmcnt(1)
	global_store_dwordx4 v[16:17], v[12:15], off
	v_cmp_gt_u32_e32 vcc, s0, v0
	s_mov_b64 s[2:3], s[8:9]
	v_lshl_add_u64 v[12:13], v[8:9], 4, v[10:11]
	s_waitcnt lgkmcnt(0)
	global_store_dwordx4 v[12:13], v[4:7], off
                                        ; implicit-def: $vgpr4_vgpr5
                                        ; implicit-def: $vgpr6_vgpr7
	s_and_saveexec_b64 s[0:1], vcc
	s_cbranch_execz .LBB0_17
; %bb.16:
	ds_read_b128 v[2:5], v2 offset:3200
	v_add_u32_e32 v8, s4, v8
	v_lshl_add_u64 v[6:7], v[8:9], 4, v[10:11]
	s_or_b64 s[2:3], s[8:9], exec
	s_waitcnt lgkmcnt(0)
	global_store_dwordx2 v[6:7], v[2:3], off
.LBB0_17:
	s_or_b64 exec, exec, s[0:1]
	s_andn2_b64 s[0:1], s[8:9], exec
	s_and_b64 s[2:3], s[2:3], exec
	s_or_b64 s[8:9], s[0:1], s[2:3]
.LBB0_18:
	s_or_b64 exec, exec, s[10:11]
.LBB0_19:
	s_and_saveexec_b64 s[0:1], s[8:9]
	s_cbranch_execnz .LBB0_21
; %bb.20:
	s_endpgm
.LBB0_21:
	global_store_dwordx2 v[6:7], v[4:5], off offset:8
	s_endpgm
	.section	.rodata,"a",@progbits
	.p2align	6, 0x0
	.amdhsa_kernel fft_rtc_fwd_len200_factors_8_5_5_wgs_400_tpt_40_dp_op_CI_CI_sbrc_erc_z_xy_unaligned_dirReg
		.amdhsa_group_segment_fixed_size 0
		.amdhsa_private_segment_fixed_size 0
		.amdhsa_kernarg_size 104
		.amdhsa_user_sgpr_count 2
		.amdhsa_user_sgpr_dispatch_ptr 0
		.amdhsa_user_sgpr_queue_ptr 0
		.amdhsa_user_sgpr_kernarg_segment_ptr 1
		.amdhsa_user_sgpr_dispatch_id 0
		.amdhsa_user_sgpr_kernarg_preload_length 0
		.amdhsa_user_sgpr_kernarg_preload_offset 0
		.amdhsa_user_sgpr_private_segment_size 0
		.amdhsa_uses_dynamic_stack 0
		.amdhsa_enable_private_segment 0
		.amdhsa_system_sgpr_workgroup_id_x 1
		.amdhsa_system_sgpr_workgroup_id_y 0
		.amdhsa_system_sgpr_workgroup_id_z 0
		.amdhsa_system_sgpr_workgroup_info 0
		.amdhsa_system_vgpr_workitem_id 0
		.amdhsa_next_free_vgpr 62
		.amdhsa_next_free_sgpr 30
		.amdhsa_accum_offset 64
		.amdhsa_reserve_vcc 1
		.amdhsa_float_round_mode_32 0
		.amdhsa_float_round_mode_16_64 0
		.amdhsa_float_denorm_mode_32 3
		.amdhsa_float_denorm_mode_16_64 3
		.amdhsa_dx10_clamp 1
		.amdhsa_ieee_mode 1
		.amdhsa_fp16_overflow 0
		.amdhsa_tg_split 0
		.amdhsa_exception_fp_ieee_invalid_op 0
		.amdhsa_exception_fp_denorm_src 0
		.amdhsa_exception_fp_ieee_div_zero 0
		.amdhsa_exception_fp_ieee_overflow 0
		.amdhsa_exception_fp_ieee_underflow 0
		.amdhsa_exception_fp_ieee_inexact 0
		.amdhsa_exception_int_div_zero 0
	.end_amdhsa_kernel
	.text
.Lfunc_end0:
	.size	fft_rtc_fwd_len200_factors_8_5_5_wgs_400_tpt_40_dp_op_CI_CI_sbrc_erc_z_xy_unaligned_dirReg, .Lfunc_end0-fft_rtc_fwd_len200_factors_8_5_5_wgs_400_tpt_40_dp_op_CI_CI_sbrc_erc_z_xy_unaligned_dirReg
                                        ; -- End function
	.section	.AMDGPU.csdata,"",@progbits
; Kernel info:
; codeLenInByte = 3720
; NumSgprs: 36
; NumVgprs: 62
; NumAgprs: 0
; TotalNumVgprs: 62
; ScratchSize: 0
; MemoryBound: 0
; FloatMode: 240
; IeeeMode: 1
; LDSByteSize: 0 bytes/workgroup (compile time only)
; SGPRBlocks: 4
; VGPRBlocks: 7
; NumSGPRsForWavesPerEU: 36
; NumVGPRsForWavesPerEU: 62
; AccumOffset: 64
; Occupancy: 7
; WaveLimiterHint : 1
; COMPUTE_PGM_RSRC2:SCRATCH_EN: 0
; COMPUTE_PGM_RSRC2:USER_SGPR: 2
; COMPUTE_PGM_RSRC2:TRAP_HANDLER: 0
; COMPUTE_PGM_RSRC2:TGID_X_EN: 1
; COMPUTE_PGM_RSRC2:TGID_Y_EN: 0
; COMPUTE_PGM_RSRC2:TGID_Z_EN: 0
; COMPUTE_PGM_RSRC2:TIDIG_COMP_CNT: 0
; COMPUTE_PGM_RSRC3_GFX90A:ACCUM_OFFSET: 15
; COMPUTE_PGM_RSRC3_GFX90A:TG_SPLIT: 0
	.text
	.p2alignl 6, 3212836864
	.fill 256, 4, 3212836864
	.type	__hip_cuid_e684da9db2b58e9,@object ; @__hip_cuid_e684da9db2b58e9
	.section	.bss,"aw",@nobits
	.globl	__hip_cuid_e684da9db2b58e9
__hip_cuid_e684da9db2b58e9:
	.byte	0                               ; 0x0
	.size	__hip_cuid_e684da9db2b58e9, 1

	.ident	"AMD clang version 19.0.0git (https://github.com/RadeonOpenCompute/llvm-project roc-6.4.0 25133 c7fe45cf4b819c5991fe208aaa96edf142730f1d)"
	.section	".note.GNU-stack","",@progbits
	.addrsig
	.addrsig_sym __hip_cuid_e684da9db2b58e9
	.amdgpu_metadata
---
amdhsa.kernels:
  - .agpr_count:     0
    .args:
      - .actual_access:  read_only
        .address_space:  global
        .offset:         0
        .size:           8
        .value_kind:     global_buffer
      - .offset:         8
        .size:           8
        .value_kind:     by_value
      - .actual_access:  read_only
        .address_space:  global
        .offset:         16
        .size:           8
        .value_kind:     global_buffer
      - .actual_access:  read_only
        .address_space:  global
        .offset:         24
        .size:           8
        .value_kind:     global_buffer
      - .actual_access:  read_only
        .address_space:  global
        .offset:         32
        .size:           8
        .value_kind:     global_buffer
      - .offset:         40
        .size:           8
        .value_kind:     by_value
      - .actual_access:  read_only
        .address_space:  global
        .offset:         48
        .size:           8
        .value_kind:     global_buffer
      - .actual_access:  read_only
        .address_space:  global
        .offset:         56
        .size:           8
        .value_kind:     global_buffer
      - .offset:         64
        .size:           4
        .value_kind:     by_value
      - .actual_access:  read_only
        .address_space:  global
        .offset:         72
        .size:           8
        .value_kind:     global_buffer
      - .actual_access:  read_only
        .address_space:  global
        .offset:         80
        .size:           8
        .value_kind:     global_buffer
      - .actual_access:  read_only
        .address_space:  global
        .offset:         88
        .size:           8
        .value_kind:     global_buffer
      - .actual_access:  write_only
        .address_space:  global
        .offset:         96
        .size:           8
        .value_kind:     global_buffer
    .group_segment_fixed_size: 0
    .kernarg_segment_align: 8
    .kernarg_segment_size: 104
    .language:       OpenCL C
    .language_version:
      - 2
      - 0
    .max_flat_workgroup_size: 400
    .name:           fft_rtc_fwd_len200_factors_8_5_5_wgs_400_tpt_40_dp_op_CI_CI_sbrc_erc_z_xy_unaligned_dirReg
    .private_segment_fixed_size: 0
    .sgpr_count:     36
    .sgpr_spill_count: 0
    .symbol:         fft_rtc_fwd_len200_factors_8_5_5_wgs_400_tpt_40_dp_op_CI_CI_sbrc_erc_z_xy_unaligned_dirReg.kd
    .uniform_work_group_size: 1
    .uses_dynamic_stack: false
    .vgpr_count:     62
    .vgpr_spill_count: 0
    .wavefront_size: 64
amdhsa.target:   amdgcn-amd-amdhsa--gfx950
amdhsa.version:
  - 1
  - 2
...

	.end_amdgpu_metadata
